;; amdgpu-corpus repo=ROCm/rocFFT kind=compiled arch=gfx906 opt=O3
	.text
	.amdgcn_target "amdgcn-amd-amdhsa--gfx906"
	.amdhsa_code_object_version 6
	.protected	fft_rtc_back_len112_factors_4_7_4_wgs_448_tpt_28_half_op_CI_CI_sbrc_erc_z_xy_unaligned_dirReg ; -- Begin function fft_rtc_back_len112_factors_4_7_4_wgs_448_tpt_28_half_op_CI_CI_sbrc_erc_z_xy_unaligned_dirReg
	.globl	fft_rtc_back_len112_factors_4_7_4_wgs_448_tpt_28_half_op_CI_CI_sbrc_erc_z_xy_unaligned_dirReg
	.p2align	8
	.type	fft_rtc_back_len112_factors_4_7_4_wgs_448_tpt_28_half_op_CI_CI_sbrc_erc_z_xy_unaligned_dirReg,@function
fft_rtc_back_len112_factors_4_7_4_wgs_448_tpt_28_half_op_CI_CI_sbrc_erc_z_xy_unaligned_dirReg: ; @fft_rtc_back_len112_factors_4_7_4_wgs_448_tpt_28_half_op_CI_CI_sbrc_erc_z_xy_unaligned_dirReg
; %bb.0:
	s_load_dwordx8 s[8:15], s[4:5], 0x8
	s_mov_b64 s[26:27], -1
	s_waitcnt lgkmcnt(0)
	s_load_dwordx4 s[0:3], s[10:11], 0x8
	s_load_dwordx4 s[16:19], s[12:13], 0x0
	s_load_dword s7, s[12:13], 0x10
	s_waitcnt lgkmcnt(0)
	s_add_i32 s1, s0, -1
	s_lshr_b32 s1, s1, 4
	s_add_i32 s3, s1, 1
	s_mul_i32 s2, s3, s2
	v_cvt_f32_u32_e32 v2, s2
	v_cvt_f32_u32_e32 v1, s3
	s_sub_i32 s10, 0, s2
	v_rcp_iflag_f32_e32 v2, v2
	v_rcp_iflag_f32_e32 v1, v1
	v_mul_f32_e32 v2, 0x4f7ffffe, v2
	v_cvt_u32_f32_e32 v2, v2
	v_mul_f32_e32 v1, 0x4f7ffffe, v1
	v_cvt_u32_f32_e32 v1, v1
	v_readfirstlane_b32 s19, v2
	s_mul_i32 s10, s10, s19
	s_mul_hi_u32 s10, s19, s10
	s_add_i32 s19, s19, s10
	s_mul_hi_u32 s10, s6, s19
	s_mul_i32 s19, s10, s2
	s_sub_i32 s19, s6, s19
	s_add_i32 s20, s10, 1
	s_sub_i32 s21, s19, s2
	s_cmp_ge_u32 s19, s2
	s_cselect_b32 s10, s20, s10
	s_cselect_b32 s19, s21, s19
	s_add_i32 s20, s10, 1
	s_cmp_ge_u32 s19, s2
	v_readfirstlane_b32 s11, v1
	s_cselect_b32 s19, s20, s10
	s_not_b32 s1, s1
	s_mul_i32 s1, s1, s11
	s_mul_i32 s2, s19, s2
	s_mul_hi_u32 s1, s11, s1
	s_sub_i32 s2, s6, s2
	s_add_i32 s11, s11, s1
	s_mul_hi_u32 s1, s2, s11
	s_mul_i32 s10, s1, s3
	s_sub_i32 s2, s2, s10
	s_add_i32 s20, s1, 1
	s_sub_i32 s10, s2, s3
	s_cmp_ge_u32 s2, s3
	s_cselect_b32 s1, s20, s1
	s_cselect_b32 s2, s10, s2
	s_add_i32 s10, s1, 1
	s_cmp_ge_u32 s2, s3
	s_cselect_b32 s28, s10, s1
	s_mul_hi_u32 s1, s6, s11
	s_mul_i32 s1, s1, s3
	s_sub_i32 s1, s6, s1
	s_sub_i32 s2, s1, s3
	s_cmp_ge_u32 s1, s3
	s_cselect_b32 s1, s2, s1
	s_sub_i32 s2, s1, s3
	s_cmp_ge_u32 s1, s3
	s_cselect_b32 s1, s2, s1
	s_lshl_b32 s1, s1, 4
	s_mul_i32 s2, s28, s7
	s_mul_i32 s3, s1, s18
	s_add_i32 s10, s3, s2
	s_lshl_b64 s[2:3], s[8:9], 3
	s_add_u32 s6, s12, s2
	s_addc_u32 s7, s13, s3
	s_load_dwordx2 s[8:9], s[6:7], 0x0
	s_load_dwordx2 s[20:21], s[4:5], 0x58
	v_mul_u32_u24_e32 v1, 0x24a, v0
	v_lshrrev_b32_e32 v1, 16, v1
	v_mul_lo_u16_e32 v2, 0x70, v1
	s_waitcnt lgkmcnt(0)
	s_mul_i32 s6, s9, s19
	s_mul_hi_u32 s7, s8, s19
	s_add_i32 s7, s7, s6
	s_mul_i32 s6, s8, s19
	s_add_u32 s22, s6, s10
	s_addc_u32 s23, s7, 0
	s_add_u32 s24, s14, s2
	s_addc_u32 s25, s15, s3
	s_add_i32 s2, s1, 16
	s_cmp_le_u32 s2, s0
	s_cselect_b64 s[6:7], -1, 0
	v_sub_u16_e32 v2, v0, v2
	s_and_b64 vcc, exec, s[6:7]
	s_cbranch_vccz .LBB0_2
; %bb.1:
	v_mad_u64_u32 v[3:4], s[2:3], s16, v2, 0
	v_mul_lo_u32 v5, s18, v1
	v_mov_b32_e32 v6, 0
	s_mov_b64 s[26:27], 0
	v_mad_u64_u32 v[7:8], s[2:3], s17, v2, v[4:5]
	s_lshl_b64 s[2:3], s[22:23], 2
	s_add_u32 s2, s20, s2
	v_mov_b32_e32 v4, v7
	v_lshlrev_b64 v[3:4], 2, v[3:4]
	s_addc_u32 s3, s21, s3
	v_mov_b32_e32 v7, s3
	v_add_co_u32_e32 v11, vcc, s2, v3
	v_addc_co_u32_e32 v12, vcc, v7, v4, vcc
	v_lshlrev_b64 v[3:4], 2, v[5:6]
	s_lshl_b32 s2, s18, 2
	v_add_u32_e32 v5, s2, v5
	v_add_co_u32_e32 v3, vcc, v11, v3
	v_lshlrev_b64 v[7:8], 2, v[5:6]
	v_addc_co_u32_e32 v4, vcc, v12, v4, vcc
	v_add_u32_e32 v5, s2, v5
	v_add_co_u32_e32 v7, vcc, v11, v7
	v_lshlrev_b64 v[9:10], 2, v[5:6]
	v_addc_co_u32_e32 v8, vcc, v12, v8, vcc
	;; [unrolled: 4-line block ×3, first 2 shown]
	v_add_co_u32_e32 v5, vcc, v11, v5
	v_addc_co_u32_e32 v6, vcc, v12, v6, vcc
	global_load_dword v11, v[3:4], off
	global_load_dword v12, v[7:8], off
	;; [unrolled: 1-line block ×4, first 2 shown]
	v_mul_u32_u24_e32 v3, 0x1c4, v1
	v_lshlrev_b32_e32 v4, 2, v2
	v_add3_u32 v3, 0, v3, v4
	s_waitcnt vmcnt(3)
	ds_write_b32 v3, v11
	s_waitcnt vmcnt(2)
	ds_write_b32 v3, v12 offset:1808
	s_waitcnt vmcnt(1)
	ds_write_b32 v3, v13 offset:3616
	;; [unrolled: 2-line block ×3, first 2 shown]
.LBB0_2:
	s_load_dwordx2 s[2:3], s[14:15], 0x10
	s_load_dwordx4 s[8:11], s[14:15], 0x0
	s_load_dwordx2 s[12:13], s[24:25], 0x0
	s_andn2_b64 vcc, exec, s[26:27]
	s_cbranch_vccnz .LBB0_7
; %bb.3:
	v_or_b32_e32 v3, s1, v1
	v_cmp_gt_u32_e32 vcc, s0, v3
	s_and_saveexec_b64 s[14:15], vcc
	s_cbranch_execz .LBB0_6
; %bb.4:
	v_mad_u64_u32 v[4:5], s[24:25], s16, v2, 0
	s_lshl_b64 s[22:23], s[22:23], 2
	s_waitcnt lgkmcnt(0)
	s_add_u32 s3, s20, s22
	v_mad_u64_u32 v[5:6], s[16:17], s17, v2, v[5:6]
	s_addc_u32 s11, s21, s23
	v_mov_b32_e32 v6, s11
	v_lshlrev_b64 v[4:5], 2, v[4:5]
	v_lshlrev_b32_e32 v2, 2, v2
	v_add_co_u32_e32 v4, vcc, s3, v4
	v_addc_co_u32_e32 v5, vcc, v6, v5, vcc
	v_mul_u32_u24_e32 v6, 0x1c4, v1
	v_mul_lo_u32 v1, v1, s18
	v_add3_u32 v6, v6, v2, 0
	s_lshl_b32 s3, s18, 2
	s_mov_b64 s[16:17], 0
	v_mov_b32_e32 v2, 0
.LBB0_5:                                ; =>This Inner Loop Header: Depth=1
	v_lshlrev_b64 v[7:8], 2, v[1:2]
	v_add_u32_e32 v3, 4, v3
	v_add_co_u32_e32 v7, vcc, v4, v7
	v_addc_co_u32_e32 v8, vcc, v5, v8, vcc
	global_load_dword v7, v[7:8], off
	v_cmp_le_u32_e32 vcc, s0, v3
	v_add_u32_e32 v1, s3, v1
	s_or_b64 s[16:17], vcc, s[16:17]
	s_waitcnt vmcnt(0)
	ds_write_b32 v6, v7
	v_add_u32_e32 v6, 0x710, v6
	s_andn2_b64 exec, exec, s[16:17]
	s_cbranch_execnz .LBB0_5
.LBB0_6:
	s_or_b64 exec, exec, s[14:15]
.LBB0_7:
	s_waitcnt lgkmcnt(0)
	s_movk_i32 s3, 0x925
	v_mul_u32_u24_sdwa v1, v0, s3 dst_sel:DWORD dst_unused:UNUSED_PAD src0_sel:WORD_0 src1_sel:DWORD
	s_mov_b32 s3, 0x924924a
	v_mul_hi_u32 v2, v0, s3
	v_mov_b32_e32 v3, 15
	v_and_b32_sdwa v1, v1, v3 dst_sel:DWORD dst_unused:UNUSED_PAD src0_sel:WORD_1 src1_sel:DWORD
	v_mul_lo_u16_e32 v1, 0x71, v1
	v_mul_u32_u24_e32 v2, 28, v2
	v_sub_u32_e32 v9, v0, v2
	v_lshlrev_b32_e32 v10, 2, v1
	v_lshlrev_b32_e32 v1, 2, v9
	v_add3_u32 v7, 0, v1, v10
	s_barrier
	v_add3_u32 v8, 0, v10, v1
	ds_read2_b32 v[2:3], v7 offset0:28 offset1:56
	ds_read_b32 v4, v8
	ds_read_b32 v1, v7 offset:336
	s_mov_b32 s3, 0xffff
	s_load_dwordx2 s[14:15], s[4:5], 0x0
	v_mad_u32_u24 v5, v9, 12, v7
	s_waitcnt lgkmcnt(0)
	v_pk_add_f16 v6, v4, v3 neg_lo:[0,1] neg_hi:[0,1]
	v_pk_add_f16 v11, v2, v1 neg_lo:[0,1] neg_hi:[0,1]
	v_pk_add_f16 v3, v6, v11 op_sel:[0,1] op_sel_hi:[1,0]
	v_pk_add_f16 v15, v6, v11 op_sel:[0,1] op_sel_hi:[1,0] neg_lo:[0,1] neg_hi:[0,1]
	v_pk_fma_f16 v4, v4, 2.0, v6 op_sel_hi:[1,0,1] neg_lo:[0,0,1] neg_hi:[0,0,1]
	v_pk_fma_f16 v2, v2, 2.0, v11 op_sel_hi:[1,0,1] neg_lo:[0,0,1] neg_hi:[0,0,1]
	v_bfi_b32 v16, s3, v3, v15
	v_pk_add_f16 v2, v4, v2 neg_lo:[0,1] neg_hi:[0,1]
	v_pk_fma_f16 v1, v6, 2.0, v16 op_sel_hi:[1,0,1] neg_lo:[0,0,1] neg_hi:[0,0,1]
	v_lshrrev_b32_e32 v6, 16, v4
	v_lshrrev_b32_e32 v13, 16, v2
	v_fma_f16 v6, v6, 2.0, -v13
	v_fma_f16 v4, v4, 2.0, -v2
	v_lshlrev_b32_e32 v6, 16, v6
	v_or_b32_sdwa v12, v6, v4 dst_sel:DWORD dst_unused:UNUSED_PAD src0_sel:DWORD src1_sel:WORD_0
	v_lshrrev_b32_e32 v14, 16, v1
	v_cmp_gt_u32_e32 vcc, 16, v9
	v_lshrrev_b32_e32 v15, 16, v15
	s_barrier
	ds_write2_b32 v5, v1, v2 offset0:1 offset1:2
	ds_write2_b32 v5, v12, v16 offset1:3
	s_waitcnt lgkmcnt(0)
	s_barrier
	s_waitcnt lgkmcnt(0)
                                        ; implicit-def: $vgpr18
                                        ; implicit-def: $vgpr6
                                        ; implicit-def: $vgpr16
                                        ; implicit-def: $vgpr17
	s_and_saveexec_b64 s[16:17], vcc
	s_cbranch_execz .LBB0_9
; %bb.8:
	ds_read2_b32 v[1:2], v7 offset0:16 offset1:32
	ds_read2_b32 v[3:4], v7 offset0:48 offset1:64
	ds_read_b32 v12, v8
	ds_read2_b32 v[5:6], v7 offset0:80 offset1:96
	s_waitcnt lgkmcnt(3)
	v_lshrrev_b32_e32 v14, 16, v1
	v_lshrrev_b32_e32 v13, 16, v2
	s_waitcnt lgkmcnt(2)
	v_lshrrev_b32_e32 v15, 16, v3
	v_lshrrev_b32_e32 v17, 16, v4
	;; [unrolled: 3-line block ×3, first 2 shown]
.LBB0_9:
	s_or_b64 exec, exec, s[16:17]
	s_load_dwordx2 s[4:5], s[4:5], 0x60
	s_waitcnt lgkmcnt(0)
	s_barrier
	s_and_saveexec_b64 s[16:17], vcc
	s_cbranch_execz .LBB0_11
; %bb.10:
	v_and_b32_e32 v11, 3, v9
	v_mul_u32_u24_e32 v19, 6, v11
	v_lshlrev_b32_e32 v25, 2, v19
	global_load_dwordx4 v[19:22], v25, s[14:15]
	global_load_dwordx2 v[23:24], v25, s[14:15] offset:16
	s_mov_b32 s20, 0xb574
	s_movk_i32 s21, 0x2b26
	s_movk_i32 s23, 0x3574
	s_mov_b32 s18, 0xb9e0
	s_movk_i32 s3, 0x39e0
	s_mov_b32 s22, 0xbcab
	s_mov_b32 s11, 0xb70e
	s_waitcnt vmcnt(1)
	v_mul_f16_sdwa v25, v17, v22 dst_sel:DWORD dst_unused:UNUSED_PAD src0_sel:DWORD src1_sel:WORD_1
	v_mul_f16_sdwa v26, v15, v21 dst_sel:DWORD dst_unused:UNUSED_PAD src0_sel:DWORD src1_sel:WORD_1
	s_waitcnt vmcnt(0)
	v_mul_f16_sdwa v29, v18, v24 dst_sel:DWORD dst_unused:UNUSED_PAD src0_sel:DWORD src1_sel:WORD_1
	v_mul_f16_sdwa v30, v16, v23 dst_sel:DWORD dst_unused:UNUSED_PAD src0_sel:DWORD src1_sel:WORD_1
	v_mul_f16_sdwa v27, v3, v21 dst_sel:DWORD dst_unused:UNUSED_PAD src0_sel:DWORD src1_sel:WORD_1
	v_mul_f16_sdwa v28, v4, v22 dst_sel:DWORD dst_unused:UNUSED_PAD src0_sel:DWORD src1_sel:WORD_1
	v_fma_f16 v4, v4, v22, v25
	v_fma_f16 v3, v3, v21, v26
	v_mul_f16_sdwa v25, v6, v24 dst_sel:DWORD dst_unused:UNUSED_PAD src0_sel:DWORD src1_sel:WORD_1
	v_mul_f16_sdwa v26, v5, v23 dst_sel:DWORD dst_unused:UNUSED_PAD src0_sel:DWORD src1_sel:WORD_1
	v_fma_f16 v6, v6, v24, v29
	v_fma_f16 v5, v5, v23, v30
	v_mul_f16_sdwa v29, v14, v19 dst_sel:DWORD dst_unused:UNUSED_PAD src0_sel:DWORD src1_sel:WORD_1
	v_mul_f16_sdwa v30, v13, v20 dst_sel:DWORD dst_unused:UNUSED_PAD src0_sel:DWORD src1_sel:WORD_1
	;; [unrolled: 4-line block ×3, first 2 shown]
	v_fma_f16 v18, v18, v24, -v25
	v_fma_f16 v1, v14, v19, -v1
	;; [unrolled: 1-line block ×6, first 2 shown]
	v_sub_f16_e32 v13, v29, v6
	v_sub_f16_e32 v17, v4, v3
	;; [unrolled: 1-line block ×3, first 2 shown]
	v_add_f16_e32 v20, v1, v18
	v_add_f16_e32 v21, v14, v15
	;; [unrolled: 1-line block ×6, first 2 shown]
	v_sub_f16_e32 v1, v1, v18
	v_sub_f16_e32 v5, v15, v14
	;; [unrolled: 1-line block ×5, first 2 shown]
	v_add_f16_e32 v16, v17, v19
	v_sub_f16_e32 v17, v20, v21
	v_sub_f16_e32 v18, v21, v22
	v_add_f16_e32 v23, v22, v20
	v_sub_f16_e32 v24, v6, v3
	v_sub_f16_e32 v25, v3, v4
	;; [unrolled: 3-line block ×3, first 2 shown]
	v_sub_f16_e32 v4, v4, v6
	v_sub_f16_e32 v6, v5, v2
	v_add_f16_e32 v5, v5, v2
	v_sub_f16_e32 v19, v19, v13
	v_sub_f16_e32 v2, v2, v1
	v_mul_f16_e32 v15, 0x3846, v15
	v_add_f16_e32 v13, v16, v13
	v_mul_f16_e32 v16, 0x3a52, v17
	v_mul_f16_e32 v17, 0x2b26, v18
	v_add_f16_e32 v21, v21, v23
	v_add_f16_e32 v3, v3, v26
	v_mul_f16_e32 v6, 0x3846, v6
	v_add_f16_e32 v1, v5, v1
	v_mul_f16_e32 v5, 0xbb00, v19
	v_mul_f16_e32 v26, 0xbb00, v2
	v_fma_f16 v5, v14, s23, -v5
	v_fma_f16 v14, v14, s20, v15
	v_fma_f16 v18, v18, s21, v16
	v_fma_f16 v16, v20, s18, -v16
	v_fma_f16 v17, v20, s3, -v17
	v_add_f16_sdwa v20, v21, v12 dst_sel:DWORD dst_unused:UNUSED_PAD src0_sel:DWORD src1_sel:WORD_1
	v_fma_f16 v26, v22, s23, -v26
	v_fma_f16 v22, v22, s20, v6
	s_mov_b32 s20, 0xbb00
	v_fma_f16 v21, v21, s22, v20
	v_fma_f16 v15, v19, s20, -v15
	v_fma_f16 v14, v13, s11, v14
	v_add_f16_e32 v17, v17, v21
	v_fma_f16 v5, v13, s11, v5
	v_fma_f16 v13, v13, s11, v15
	v_fma_f16 v2, v2, s20, -v6
	v_add_f16_e32 v12, v3, v12
	v_fma_f16 v22, v1, s11, v22
	v_fma_f16 v26, v1, s11, v26
	;; [unrolled: 1-line block ×3, first 2 shown]
	v_sub_f16_e32 v2, v17, v13
	v_add_f16_e32 v13, v13, v17
	v_lshlrev_b32_e32 v17, 16, v20
	v_mul_f16_e32 v23, 0x3a52, v24
	v_mul_f16_e32 v24, 0x2b26, v25
	v_fma_f16 v3, v3, s22, v12
	v_or_b32_e32 v12, v17, v12
	v_lshrrev_b32_e32 v17, 2, v9
	v_fma_f16 v25, v25, s21, v23
	v_fma_f16 v23, v4, s18, -v23
	v_fma_f16 v4, v4, s3, -v24
	v_mul_u32_u24_e32 v17, 28, v17
	v_add_f16_e32 v25, v25, v3
	v_add_f16_e32 v16, v16, v21
	;; [unrolled: 1-line block ×4, first 2 shown]
	v_or_b32_e32 v11, v17, v11
	v_add_f16_e32 v15, v5, v16
	v_add_f16_e32 v4, v1, v3
	v_sub_f16_e32 v1, v3, v1
	v_sub_f16_e32 v3, v16, v5
	v_add_f16_e32 v5, v26, v23
	v_lshlrev_b32_e32 v11, 2, v11
	v_add_f16_e32 v18, v18, v21
	v_sub_f16_e32 v6, v23, v26
	v_add3_u32 v10, 0, v11, v10
	v_pack_b32_f16 v3, v5, v3
	v_pack_b32_f16 v1, v1, v13
	v_add_f16_e32 v21, v14, v18
	v_sub_f16_e32 v19, v25, v22
	v_sub_f16_e32 v14, v18, v14
	v_add_f16_e32 v16, v22, v25
	ds_write2_b32 v10, v3, v1 offset0:8 offset1:12
	v_pack_b32_f16 v1, v4, v2
	v_pack_b32_f16 v2, v6, v15
	;; [unrolled: 1-line block ×3, first 2 shown]
	ds_write2_b32 v10, v1, v2 offset0:16 offset1:20
	v_pack_b32_f16 v1, v19, v21
	ds_write2_b32 v10, v12, v11 offset1:4
	ds_write_b32 v10, v1 offset:96
.LBB0_11:
	s_or_b64 exec, exec, s[16:17]
	v_mul_u32_u24_e32 v1, 3, v9
	v_lshlrev_b32_e32 v1, 2, v1
	s_waitcnt lgkmcnt(0)
	s_barrier
	global_load_dwordx3 v[9:11], v1, s[14:15] offset:96
	ds_read2_b32 v[1:2], v7 offset0:28 offset1:56
	ds_read_b32 v5, v8
	ds_read_b32 v6, v7 offset:336
	s_mul_i32 s28, s28, s10
	s_mul_i32 s3, s9, s1
	s_waitcnt lgkmcnt(2)
	v_lshrrev_b32_e32 v8, 16, v1
	v_lshrrev_b32_e32 v12, 16, v2
	s_waitcnt lgkmcnt(0)
	v_lshrrev_b32_e32 v13, 16, v6
	v_lshrrev_b32_e32 v14, 16, v5
	s_mul_hi_u32 s10, s8, s1
	s_mul_i32 s11, s8, s1
	s_add_i32 s10, s10, s3
	s_mul_i32 s13, s13, s19
	s_mul_hi_u32 s14, s12, s19
	s_add_u32 s3, s11, s28
	s_mul_i32 s12, s12, s19
	s_addc_u32 s11, s10, 0
	s_add_i32 s14, s14, s13
	s_add_u32 s10, s3, s12
	v_lshrrev_b32_e32 v3, 4, v0
	v_and_b32_e32 v4, 15, v0
	s_waitcnt vmcnt(0)
	s_barrier
	s_addc_u32 s11, s11, s14
	s_andn2_b64 vcc, exec, s[6:7]
	s_mov_b64 s[6:7], -1
	v_mul_f16_sdwa v15, v9, v8 dst_sel:DWORD dst_unused:UNUSED_PAD src0_sel:WORD_1 src1_sel:DWORD
	v_mul_f16_sdwa v16, v9, v1 dst_sel:DWORD dst_unused:UNUSED_PAD src0_sel:WORD_1 src1_sel:DWORD
	;; [unrolled: 1-line block ×6, first 2 shown]
	v_fma_f16 v1, v9, v1, v15
	v_fma_f16 v8, v9, v8, -v16
	v_fma_f16 v2, v10, v2, v17
	v_fma_f16 v9, v10, v12, -v18
	v_fma_f16 v10, v11, v13, -v20
	v_fma_f16 v6, v11, v6, v19
	v_sub_f16_e32 v9, v14, v9
	v_sub_f16_e32 v10, v8, v10
	;; [unrolled: 1-line block ×4, first 2 shown]
	v_fma_f16 v11, v14, 2.0, -v9
	v_fma_f16 v8, v8, 2.0, -v10
	;; [unrolled: 1-line block ×4, first 2 shown]
	v_add_f16_e32 v10, v2, v10
	v_sub_f16_e32 v6, v9, v6
	v_sub_f16_e32 v8, v11, v8
	;; [unrolled: 1-line block ×3, first 2 shown]
	v_fma_f16 v2, v2, 2.0, -v10
	v_fma_f16 v9, v9, 2.0, -v6
	v_pack_b32_f16 v6, v10, v6
	v_fma_f16 v10, v11, 2.0, -v8
	v_fma_f16 v5, v5, 2.0, -v1
	v_pack_b32_f16 v1, v1, v8
	v_lshlrev_b32_e32 v8, 16, v10
	v_pack_b32_f16 v2, v2, v9
	ds_write2_b32 v7, v1, v6 offset0:56 offset1:84
	v_or_b32_sdwa v1, v8, v5 dst_sel:DWORD dst_unused:UNUSED_PAD src0_sel:DWORD src1_sel:WORD_0
	ds_write2_b32 v7, v1, v2 offset1:28
	s_waitcnt lgkmcnt(0)
	s_barrier
	s_cbranch_vccnz .LBB0_15
; %bb.12:
	v_mad_u64_u32 v[5:6], s[6:7], s8, v4, 0
	v_mul_lo_u32 v7, v3, s2
	s_movk_i32 s3, 0x1c4
	v_mov_b32_e32 v1, v6
	v_mad_u64_u32 v[1:2], s[6:7], s9, v4, v[1:2]
	s_lshl_b64 s[12:13], s[10:11], 2
	v_mov_b32_e32 v8, 0
	v_mov_b32_e32 v6, v1
	v_mad_u32_u24 v1, v4, s3, 0
	s_add_u32 s3, s4, s12
	v_lshlrev_b64 v[5:6], 2, v[5:6]
	v_lshl_add_u32 v13, v3, 2, v1
	s_addc_u32 s6, s5, s13
	ds_read2_b32 v[9:10], v13 offset1:28
	v_mov_b32_e32 v11, s6
	v_add_co_u32_e32 v2, vcc, s3, v5
	v_addc_co_u32_e32 v5, vcc, v11, v6, vcc
	v_lshlrev_b64 v[11:12], 2, v[7:8]
	s_mul_i32 s3, s2, 28
	v_add_co_u32_e32 v11, vcc, v2, v11
	v_addc_co_u32_e32 v12, vcc, v5, v12, vcc
	v_add_u32_e32 v7, s3, v7
	s_waitcnt lgkmcnt(0)
	global_store_dword v[11:12], v9, off
	v_lshlrev_b64 v[11:12], 2, v[7:8]
	v_add_u32_e32 v7, s3, v7
	v_add_co_u32_e32 v11, vcc, v2, v11
	v_addc_co_u32_e32 v12, vcc, v5, v12, vcc
	global_store_dword v[11:12], v10, off
	v_lshlrev_b64 v[11:12], 2, v[7:8]
	v_add_u32_e32 v7, s3, v7
	ds_read2_b32 v[9:10], v13 offset0:56 offset1:84
	v_add_co_u32_e32 v11, vcc, v2, v11
	v_lshlrev_b64 v[6:7], 2, v[7:8]
	v_addc_co_u32_e32 v12, vcc, v5, v12, vcc
	v_add_co_u32_e32 v6, vcc, v2, v6
	v_addc_co_u32_e32 v7, vcc, v5, v7, vcc
	s_mov_b32 s7, 0
	v_cmp_gt_u32_e32 vcc, 16, v0
	s_waitcnt lgkmcnt(0)
	global_store_dword v[11:12], v9, off
	global_store_dword v[6:7], v10, off
	s_and_saveexec_b64 s[12:13], vcc
	s_cbranch_execz .LBB0_14
; %bb.13:
	ds_read_b32 v6, v1 offset:448
	s_mul_i32 s6, s2, 0x70
	s_lshl_b64 s[6:7], s[6:7], 2
	v_mov_b32_e32 v7, s7
	v_add_co_u32_e32 v1, vcc, s6, v2
	v_addc_co_u32_e32 v2, vcc, v5, v7, vcc
	s_waitcnt lgkmcnt(0)
	global_store_dword v[1:2], v6, off
.LBB0_14:
	s_or_b64 exec, exec, s[12:13]
	s_mov_b64 s[6:7], 0
.LBB0_15:
	s_andn2_b64 vcc, exec, s[6:7]
	s_cbranch_vccnz .LBB0_19
; %bb.16:
	v_or_b32_e32 v1, s1, v4
	v_cmp_gt_u32_e32 vcc, s0, v1
	s_and_saveexec_b64 s[6:7], vcc
	s_cbranch_execz .LBB0_19
; %bb.17:
	v_mad_u64_u32 v[5:6], s[6:7], s8, v4, 0
	v_mul_lo_u32 v1, v3, s2
	s_movk_i32 s1, 0x1c4
	v_mov_b32_e32 v2, v6
	v_mad_u64_u32 v[6:7], s[6:7], s9, v4, v[2:3]
	s_lshl_b64 s[6:7], s[10:11], 2
	v_mad_u32_u24 v4, v4, s1, 0
	s_add_u32 s1, s4, s6
	v_lshlrev_b64 v[5:6], 2, v[5:6]
	v_lshl_add_u32 v11, v3, 2, v4
	s_addc_u32 s3, s5, s7
	v_mov_b32_e32 v2, 0
	ds_read2_b32 v[7:8], v11 offset1:28
	v_mov_b32_e32 v9, s3
	v_add_co_u32_e32 v3, vcc, s1, v5
	v_addc_co_u32_e32 v5, vcc, v9, v6, vcc
	v_lshlrev_b64 v[9:10], 2, v[1:2]
	s_mul_i32 s1, s2, 28
	v_add_co_u32_e32 v9, vcc, v3, v9
	v_addc_co_u32_e32 v10, vcc, v5, v10, vcc
	v_add_u32_e32 v1, s1, v1
	s_waitcnt lgkmcnt(0)
	global_store_dword v[9:10], v7, off
	v_lshlrev_b64 v[6:7], 2, v[1:2]
	v_add_u32_e32 v1, s1, v1
	v_add_co_u32_e32 v6, vcc, v3, v6
	v_addc_co_u32_e32 v7, vcc, v5, v7, vcc
	global_store_dword v[6:7], v8, off
	ds_read2_b32 v[6:7], v11 offset0:56 offset1:84
	v_lshlrev_b64 v[8:9], 2, v[1:2]
	v_add_u32_e32 v1, s1, v1
	v_add_co_u32_e32 v8, vcc, v3, v8
	v_addc_co_u32_e32 v9, vcc, v5, v9, vcc
	s_waitcnt lgkmcnt(0)
	global_store_dword v[8:9], v6, off
	v_lshlrev_b64 v[8:9], 2, v[1:2]
	s_and_b32 s0, s0, 15
	v_add_co_u32_e32 v8, vcc, v3, v8
	v_addc_co_u32_e32 v9, vcc, v5, v9, vcc
	v_cmp_gt_u32_e32 vcc, s0, v0
	global_store_dword v[8:9], v7, off
	s_and_b64 exec, exec, vcc
	s_cbranch_execz .LBB0_19
; %bb.18:
	v_add_u32_e32 v1, s1, v1
	ds_read_b32 v4, v4 offset:448
	v_lshlrev_b64 v[0:1], 2, v[1:2]
	v_add_co_u32_e32 v0, vcc, v3, v0
	v_addc_co_u32_e32 v1, vcc, v5, v1, vcc
	s_waitcnt lgkmcnt(0)
	global_store_dword v[0:1], v4, off
.LBB0_19:
	s_endpgm
	.section	.rodata,"a",@progbits
	.p2align	6, 0x0
	.amdhsa_kernel fft_rtc_back_len112_factors_4_7_4_wgs_448_tpt_28_half_op_CI_CI_sbrc_erc_z_xy_unaligned_dirReg
		.amdhsa_group_segment_fixed_size 0
		.amdhsa_private_segment_fixed_size 0
		.amdhsa_kernarg_size 104
		.amdhsa_user_sgpr_count 6
		.amdhsa_user_sgpr_private_segment_buffer 1
		.amdhsa_user_sgpr_dispatch_ptr 0
		.amdhsa_user_sgpr_queue_ptr 0
		.amdhsa_user_sgpr_kernarg_segment_ptr 1
		.amdhsa_user_sgpr_dispatch_id 0
		.amdhsa_user_sgpr_flat_scratch_init 0
		.amdhsa_user_sgpr_private_segment_size 0
		.amdhsa_uses_dynamic_stack 0
		.amdhsa_system_sgpr_private_segment_wavefront_offset 0
		.amdhsa_system_sgpr_workgroup_id_x 1
		.amdhsa_system_sgpr_workgroup_id_y 0
		.amdhsa_system_sgpr_workgroup_id_z 0
		.amdhsa_system_sgpr_workgroup_info 0
		.amdhsa_system_vgpr_workitem_id 0
		.amdhsa_next_free_vgpr 31
		.amdhsa_next_free_sgpr 29
		.amdhsa_reserve_vcc 1
		.amdhsa_reserve_flat_scratch 0
		.amdhsa_float_round_mode_32 0
		.amdhsa_float_round_mode_16_64 0
		.amdhsa_float_denorm_mode_32 3
		.amdhsa_float_denorm_mode_16_64 3
		.amdhsa_dx10_clamp 1
		.amdhsa_ieee_mode 1
		.amdhsa_fp16_overflow 0
		.amdhsa_exception_fp_ieee_invalid_op 0
		.amdhsa_exception_fp_denorm_src 0
		.amdhsa_exception_fp_ieee_div_zero 0
		.amdhsa_exception_fp_ieee_overflow 0
		.amdhsa_exception_fp_ieee_underflow 0
		.amdhsa_exception_fp_ieee_inexact 0
		.amdhsa_exception_int_div_zero 0
	.end_amdhsa_kernel
	.text
.Lfunc_end0:
	.size	fft_rtc_back_len112_factors_4_7_4_wgs_448_tpt_28_half_op_CI_CI_sbrc_erc_z_xy_unaligned_dirReg, .Lfunc_end0-fft_rtc_back_len112_factors_4_7_4_wgs_448_tpt_28_half_op_CI_CI_sbrc_erc_z_xy_unaligned_dirReg
                                        ; -- End function
	.section	.AMDGPU.csdata,"",@progbits
; Kernel info:
; codeLenInByte = 3084
; NumSgprs: 33
; NumVgprs: 31
; ScratchSize: 0
; MemoryBound: 0
; FloatMode: 240
; IeeeMode: 1
; LDSByteSize: 0 bytes/workgroup (compile time only)
; SGPRBlocks: 4
; VGPRBlocks: 7
; NumSGPRsForWavesPerEU: 33
; NumVGPRsForWavesPerEU: 31
; Occupancy: 8
; WaveLimiterHint : 1
; COMPUTE_PGM_RSRC2:SCRATCH_EN: 0
; COMPUTE_PGM_RSRC2:USER_SGPR: 6
; COMPUTE_PGM_RSRC2:TRAP_HANDLER: 0
; COMPUTE_PGM_RSRC2:TGID_X_EN: 1
; COMPUTE_PGM_RSRC2:TGID_Y_EN: 0
; COMPUTE_PGM_RSRC2:TGID_Z_EN: 0
; COMPUTE_PGM_RSRC2:TIDIG_COMP_CNT: 0
	.type	__hip_cuid_1ee070f8212a225a,@object ; @__hip_cuid_1ee070f8212a225a
	.section	.bss,"aw",@nobits
	.globl	__hip_cuid_1ee070f8212a225a
__hip_cuid_1ee070f8212a225a:
	.byte	0                               ; 0x0
	.size	__hip_cuid_1ee070f8212a225a, 1

	.ident	"AMD clang version 19.0.0git (https://github.com/RadeonOpenCompute/llvm-project roc-6.4.0 25133 c7fe45cf4b819c5991fe208aaa96edf142730f1d)"
	.section	".note.GNU-stack","",@progbits
	.addrsig
	.addrsig_sym __hip_cuid_1ee070f8212a225a
	.amdgpu_metadata
---
amdhsa.kernels:
  - .args:
      - .actual_access:  read_only
        .address_space:  global
        .offset:         0
        .size:           8
        .value_kind:     global_buffer
      - .offset:         8
        .size:           8
        .value_kind:     by_value
      - .actual_access:  read_only
        .address_space:  global
        .offset:         16
        .size:           8
        .value_kind:     global_buffer
      - .actual_access:  read_only
        .address_space:  global
        .offset:         24
        .size:           8
        .value_kind:     global_buffer
      - .actual_access:  read_only
        .address_space:  global
        .offset:         32
        .size:           8
        .value_kind:     global_buffer
      - .offset:         40
        .size:           8
        .value_kind:     by_value
      - .actual_access:  read_only
        .address_space:  global
        .offset:         48
        .size:           8
        .value_kind:     global_buffer
      - .actual_access:  read_only
        .address_space:  global
        .offset:         56
        .size:           8
        .value_kind:     global_buffer
      - .offset:         64
        .size:           4
        .value_kind:     by_value
      - .actual_access:  read_only
        .address_space:  global
        .offset:         72
        .size:           8
        .value_kind:     global_buffer
      - .actual_access:  read_only
        .address_space:  global
        .offset:         80
        .size:           8
        .value_kind:     global_buffer
      - .actual_access:  read_only
        .address_space:  global
        .offset:         88
        .size:           8
        .value_kind:     global_buffer
      - .actual_access:  write_only
        .address_space:  global
        .offset:         96
        .size:           8
        .value_kind:     global_buffer
    .group_segment_fixed_size: 0
    .kernarg_segment_align: 8
    .kernarg_segment_size: 104
    .language:       OpenCL C
    .language_version:
      - 2
      - 0
    .max_flat_workgroup_size: 448
    .name:           fft_rtc_back_len112_factors_4_7_4_wgs_448_tpt_28_half_op_CI_CI_sbrc_erc_z_xy_unaligned_dirReg
    .private_segment_fixed_size: 0
    .sgpr_count:     33
    .sgpr_spill_count: 0
    .symbol:         fft_rtc_back_len112_factors_4_7_4_wgs_448_tpt_28_half_op_CI_CI_sbrc_erc_z_xy_unaligned_dirReg.kd
    .uniform_work_group_size: 1
    .uses_dynamic_stack: false
    .vgpr_count:     31
    .vgpr_spill_count: 0
    .wavefront_size: 64
amdhsa.target:   amdgcn-amd-amdhsa--gfx906
amdhsa.version:
  - 1
  - 2
...

	.end_amdgpu_metadata
